;; amdgpu-corpus repo=ROCm/rocFFT kind=compiled arch=gfx906 opt=O3
	.text
	.amdgcn_target "amdgcn-amd-amdhsa--gfx906"
	.amdhsa_code_object_version 6
	.protected	fft_rtc_fwd_len2592_factors_6_6_6_6_2_wgs_216_tpt_216_halfLds_half_ip_CI_unitstride_sbrr_R2C_dirReg ; -- Begin function fft_rtc_fwd_len2592_factors_6_6_6_6_2_wgs_216_tpt_216_halfLds_half_ip_CI_unitstride_sbrr_R2C_dirReg
	.globl	fft_rtc_fwd_len2592_factors_6_6_6_6_2_wgs_216_tpt_216_halfLds_half_ip_CI_unitstride_sbrr_R2C_dirReg
	.p2align	8
	.type	fft_rtc_fwd_len2592_factors_6_6_6_6_2_wgs_216_tpt_216_halfLds_half_ip_CI_unitstride_sbrr_R2C_dirReg,@function
fft_rtc_fwd_len2592_factors_6_6_6_6_2_wgs_216_tpt_216_halfLds_half_ip_CI_unitstride_sbrr_R2C_dirReg: ; @fft_rtc_fwd_len2592_factors_6_6_6_6_2_wgs_216_tpt_216_halfLds_half_ip_CI_unitstride_sbrr_R2C_dirReg
; %bb.0:
	s_load_dwordx2 s[2:3], s[4:5], 0x50
	s_load_dwordx4 s[8:11], s[4:5], 0x0
	s_load_dwordx2 s[12:13], s[4:5], 0x18
	v_mul_u32_u24_e32 v1, 0x130, v0
	v_add_u32_sdwa v5, s6, v1 dst_sel:DWORD dst_unused:UNUSED_PAD src0_sel:DWORD src1_sel:WORD_1
	v_mov_b32_e32 v3, 0
	s_waitcnt lgkmcnt(0)
	v_cmp_lt_u64_e64 s[0:1], s[10:11], 2
	v_mov_b32_e32 v1, 0
	v_mov_b32_e32 v6, v3
	s_and_b64 vcc, exec, s[0:1]
	v_mov_b32_e32 v2, 0
	s_cbranch_vccnz .LBB0_8
; %bb.1:
	s_load_dwordx2 s[0:1], s[4:5], 0x10
	s_add_u32 s6, s12, 8
	s_addc_u32 s7, s13, 0
	v_mov_b32_e32 v1, 0
	v_mov_b32_e32 v2, 0
	s_waitcnt lgkmcnt(0)
	s_add_u32 s14, s0, 8
	s_addc_u32 s15, s1, 0
	s_mov_b64 s[16:17], 1
.LBB0_2:                                ; =>This Inner Loop Header: Depth=1
	s_load_dwordx2 s[18:19], s[14:15], 0x0
                                        ; implicit-def: $vgpr7_vgpr8
	s_waitcnt lgkmcnt(0)
	v_or_b32_e32 v4, s19, v6
	v_cmp_ne_u64_e32 vcc, 0, v[3:4]
	s_and_saveexec_b64 s[0:1], vcc
	s_xor_b64 s[20:21], exec, s[0:1]
	s_cbranch_execz .LBB0_4
; %bb.3:                                ;   in Loop: Header=BB0_2 Depth=1
	v_cvt_f32_u32_e32 v4, s18
	v_cvt_f32_u32_e32 v7, s19
	s_sub_u32 s0, 0, s18
	s_subb_u32 s1, 0, s19
	v_mac_f32_e32 v4, 0x4f800000, v7
	v_rcp_f32_e32 v4, v4
	v_mul_f32_e32 v4, 0x5f7ffffc, v4
	v_mul_f32_e32 v7, 0x2f800000, v4
	v_trunc_f32_e32 v7, v7
	v_mac_f32_e32 v4, 0xcf800000, v7
	v_cvt_u32_f32_e32 v7, v7
	v_cvt_u32_f32_e32 v4, v4
	v_mul_lo_u32 v8, s0, v7
	v_mul_hi_u32 v9, s0, v4
	v_mul_lo_u32 v11, s1, v4
	v_mul_lo_u32 v10, s0, v4
	v_add_u32_e32 v8, v9, v8
	v_add_u32_e32 v8, v8, v11
	v_mul_hi_u32 v9, v4, v10
	v_mul_lo_u32 v11, v4, v8
	v_mul_hi_u32 v13, v4, v8
	v_mul_hi_u32 v12, v7, v10
	v_mul_lo_u32 v10, v7, v10
	v_mul_hi_u32 v14, v7, v8
	v_add_co_u32_e32 v9, vcc, v9, v11
	v_addc_co_u32_e32 v11, vcc, 0, v13, vcc
	v_mul_lo_u32 v8, v7, v8
	v_add_co_u32_e32 v9, vcc, v9, v10
	v_addc_co_u32_e32 v9, vcc, v11, v12, vcc
	v_addc_co_u32_e32 v10, vcc, 0, v14, vcc
	v_add_co_u32_e32 v8, vcc, v9, v8
	v_addc_co_u32_e32 v9, vcc, 0, v10, vcc
	v_add_co_u32_e32 v4, vcc, v4, v8
	v_addc_co_u32_e32 v7, vcc, v7, v9, vcc
	v_mul_lo_u32 v8, s0, v7
	v_mul_hi_u32 v9, s0, v4
	v_mul_lo_u32 v10, s1, v4
	v_mul_lo_u32 v11, s0, v4
	v_add_u32_e32 v8, v9, v8
	v_add_u32_e32 v8, v8, v10
	v_mul_lo_u32 v12, v4, v8
	v_mul_hi_u32 v13, v4, v11
	v_mul_hi_u32 v14, v4, v8
	;; [unrolled: 1-line block ×3, first 2 shown]
	v_mul_lo_u32 v11, v7, v11
	v_mul_hi_u32 v9, v7, v8
	v_add_co_u32_e32 v12, vcc, v13, v12
	v_addc_co_u32_e32 v13, vcc, 0, v14, vcc
	v_mul_lo_u32 v8, v7, v8
	v_add_co_u32_e32 v11, vcc, v12, v11
	v_addc_co_u32_e32 v10, vcc, v13, v10, vcc
	v_addc_co_u32_e32 v9, vcc, 0, v9, vcc
	v_add_co_u32_e32 v8, vcc, v10, v8
	v_addc_co_u32_e32 v9, vcc, 0, v9, vcc
	v_add_co_u32_e32 v4, vcc, v4, v8
	v_addc_co_u32_e32 v9, vcc, v7, v9, vcc
	v_mad_u64_u32 v[7:8], s[0:1], v5, v9, 0
	v_mul_hi_u32 v10, v5, v4
	v_add_co_u32_e32 v11, vcc, v10, v7
	v_addc_co_u32_e32 v12, vcc, 0, v8, vcc
	v_mad_u64_u32 v[7:8], s[0:1], v6, v4, 0
	v_mad_u64_u32 v[9:10], s[0:1], v6, v9, 0
	v_add_co_u32_e32 v4, vcc, v11, v7
	v_addc_co_u32_e32 v4, vcc, v12, v8, vcc
	v_addc_co_u32_e32 v7, vcc, 0, v10, vcc
	v_add_co_u32_e32 v4, vcc, v4, v9
	v_addc_co_u32_e32 v9, vcc, 0, v7, vcc
	v_mul_lo_u32 v10, s19, v4
	v_mul_lo_u32 v11, s18, v9
	v_mad_u64_u32 v[7:8], s[0:1], s18, v4, 0
	v_add3_u32 v8, v8, v11, v10
	v_sub_u32_e32 v10, v6, v8
	v_mov_b32_e32 v11, s19
	v_sub_co_u32_e32 v7, vcc, v5, v7
	v_subb_co_u32_e64 v10, s[0:1], v10, v11, vcc
	v_subrev_co_u32_e64 v11, s[0:1], s18, v7
	v_subbrev_co_u32_e64 v10, s[0:1], 0, v10, s[0:1]
	v_cmp_le_u32_e64 s[0:1], s19, v10
	v_cndmask_b32_e64 v12, 0, -1, s[0:1]
	v_cmp_le_u32_e64 s[0:1], s18, v11
	v_cndmask_b32_e64 v11, 0, -1, s[0:1]
	v_cmp_eq_u32_e64 s[0:1], s19, v10
	v_cndmask_b32_e64 v10, v12, v11, s[0:1]
	v_add_co_u32_e64 v11, s[0:1], 2, v4
	v_addc_co_u32_e64 v12, s[0:1], 0, v9, s[0:1]
	v_add_co_u32_e64 v13, s[0:1], 1, v4
	v_addc_co_u32_e64 v14, s[0:1], 0, v9, s[0:1]
	v_subb_co_u32_e32 v8, vcc, v6, v8, vcc
	v_cmp_ne_u32_e64 s[0:1], 0, v10
	v_cmp_le_u32_e32 vcc, s19, v8
	v_cndmask_b32_e64 v10, v14, v12, s[0:1]
	v_cndmask_b32_e64 v12, 0, -1, vcc
	v_cmp_le_u32_e32 vcc, s18, v7
	v_cndmask_b32_e64 v7, 0, -1, vcc
	v_cmp_eq_u32_e32 vcc, s19, v8
	v_cndmask_b32_e32 v7, v12, v7, vcc
	v_cmp_ne_u32_e32 vcc, 0, v7
	v_cndmask_b32_e64 v7, v13, v11, s[0:1]
	v_cndmask_b32_e32 v8, v9, v10, vcc
	v_cndmask_b32_e32 v7, v4, v7, vcc
.LBB0_4:                                ;   in Loop: Header=BB0_2 Depth=1
	s_andn2_saveexec_b64 s[0:1], s[20:21]
	s_cbranch_execz .LBB0_6
; %bb.5:                                ;   in Loop: Header=BB0_2 Depth=1
	v_cvt_f32_u32_e32 v4, s18
	s_sub_i32 s20, 0, s18
	v_rcp_iflag_f32_e32 v4, v4
	v_mul_f32_e32 v4, 0x4f7ffffe, v4
	v_cvt_u32_f32_e32 v4, v4
	v_mul_lo_u32 v7, s20, v4
	v_mul_hi_u32 v7, v4, v7
	v_add_u32_e32 v4, v4, v7
	v_mul_hi_u32 v4, v5, v4
	v_mul_lo_u32 v7, v4, s18
	v_add_u32_e32 v8, 1, v4
	v_sub_u32_e32 v7, v5, v7
	v_subrev_u32_e32 v9, s18, v7
	v_cmp_le_u32_e32 vcc, s18, v7
	v_cndmask_b32_e32 v7, v7, v9, vcc
	v_cndmask_b32_e32 v4, v4, v8, vcc
	v_add_u32_e32 v8, 1, v4
	v_cmp_le_u32_e32 vcc, s18, v7
	v_cndmask_b32_e32 v7, v4, v8, vcc
	v_mov_b32_e32 v8, v3
.LBB0_6:                                ;   in Loop: Header=BB0_2 Depth=1
	s_or_b64 exec, exec, s[0:1]
	v_mul_lo_u32 v4, v8, s18
	v_mul_lo_u32 v11, v7, s19
	v_mad_u64_u32 v[9:10], s[0:1], v7, s18, 0
	s_load_dwordx2 s[0:1], s[6:7], 0x0
	s_add_u32 s16, s16, 1
	v_add3_u32 v4, v10, v11, v4
	v_sub_co_u32_e32 v5, vcc, v5, v9
	v_subb_co_u32_e32 v4, vcc, v6, v4, vcc
	s_waitcnt lgkmcnt(0)
	v_mul_lo_u32 v4, s0, v4
	v_mul_lo_u32 v6, s1, v5
	v_mad_u64_u32 v[1:2], s[0:1], s0, v5, v[1:2]
	s_addc_u32 s17, s17, 0
	s_add_u32 s6, s6, 8
	v_add3_u32 v2, v6, v2, v4
	v_mov_b32_e32 v4, s10
	v_mov_b32_e32 v5, s11
	s_addc_u32 s7, s7, 0
	v_cmp_ge_u64_e32 vcc, s[16:17], v[4:5]
	s_add_u32 s14, s14, 8
	s_addc_u32 s15, s15, 0
	s_cbranch_vccnz .LBB0_9
; %bb.7:                                ;   in Loop: Header=BB0_2 Depth=1
	v_mov_b32_e32 v5, v7
	v_mov_b32_e32 v6, v8
	s_branch .LBB0_2
.LBB0_8:
	v_mov_b32_e32 v8, v6
	v_mov_b32_e32 v7, v5
.LBB0_9:
	s_lshl_b64 s[0:1], s[10:11], 3
	s_add_u32 s0, s12, s0
	s_addc_u32 s1, s13, s1
	s_load_dwordx2 s[6:7], s[0:1], 0x0
	s_load_dwordx2 s[10:11], s[4:5], 0x20
                                        ; implicit-def: $vgpr10
                                        ; implicit-def: $vgpr12
                                        ; implicit-def: $vgpr6
	s_waitcnt lgkmcnt(0)
	v_mad_u64_u32 v[2:3], s[0:1], s6, v7, v[1:2]
	s_mov_b32 s0, 0x12f684c
	v_mul_hi_u32 v1, v0, s0
	v_mul_lo_u32 v4, s6, v8
	v_mul_lo_u32 v5, s7, v7
	v_cmp_gt_u64_e64 s[0:1], s[10:11], v[7:8]
	v_cmp_le_u64_e32 vcc, s[10:11], v[7:8]
	v_mul_u32_u24_e32 v1, 0xd8, v1
	v_add3_u32 v3, v5, v3, v4
	v_sub_u32_e32 v0, v0, v1
                                        ; implicit-def: $vgpr4
                                        ; implicit-def: $vgpr8
	s_and_saveexec_b64 s[4:5], vcc
	s_xor_b64 s[4:5], exec, s[4:5]
; %bb.10:
	v_mov_b32_e32 v1, 0
	v_add_u32_e32 v4, 0xd8, v0
	v_add_u32_e32 v10, 0x1b0, v0
	;; [unrolled: 1-line block ×5, first 2 shown]
	v_mov_b32_e32 v5, v1
	v_mov_b32_e32 v11, v1
	;; [unrolled: 1-line block ×5, first 2 shown]
; %bb.11:
	s_or_saveexec_b64 s[4:5], s[4:5]
	v_lshlrev_b64 v[2:3], 2, v[2:3]
	s_xor_b64 exec, exec, s[4:5]
	s_cbranch_execz .LBB0_13
; %bb.12:
	v_mov_b32_e32 v1, 0
	v_mov_b32_e32 v4, s3
	v_add_co_u32_e32 v6, vcc, s2, v2
	v_addc_co_u32_e32 v7, vcc, v4, v3, vcc
	v_lshlrev_b64 v[4:5], 2, v[0:1]
	s_movk_i32 s6, 0x1000
	v_add_co_u32_e32 v4, vcc, v6, v4
	v_addc_co_u32_e32 v5, vcc, v7, v5, vcc
	v_add_co_u32_e32 v6, vcc, s6, v4
	v_addc_co_u32_e32 v7, vcc, 0, v5, vcc
	global_load_dword v14, v[4:5], off
	global_load_dword v15, v[4:5], off offset:864
	global_load_dword v16, v[4:5], off offset:1728
	;; [unrolled: 1-line block ×7, first 2 shown]
	v_add_co_u32_e32 v4, vcc, 0x2000, v4
	v_addc_co_u32_e32 v5, vcc, 0, v5, vcc
	global_load_dword v22, v[6:7], off offset:2816
	global_load_dword v23, v[6:7], off offset:3680
	;; [unrolled: 1-line block ×4, first 2 shown]
	v_lshl_add_u32 v26, v0, 2, 0
	v_add_u32_e32 v4, 0xd8, v0
	v_add_u32_e32 v10, 0x1b0, v0
	;; [unrolled: 1-line block ×8, first 2 shown]
	v_mov_b32_e32 v5, v1
	v_mov_b32_e32 v11, v1
	;; [unrolled: 1-line block ×5, first 2 shown]
	v_add_u32_e32 v30, 0x1b00, v26
	s_waitcnt vmcnt(10)
	ds_write2_b32 v26, v14, v15 offset1:216
	s_waitcnt vmcnt(8)
	ds_write2_b32 v27, v16, v17 offset0:16 offset1:232
	s_waitcnt vmcnt(6)
	ds_write2_b32 v28, v18, v19 offset0:32 offset1:248
	;; [unrolled: 2-line block ×3, first 2 shown]
	s_waitcnt vmcnt(2)
	ds_write2_b32 v30, v22, v23 offset1:216
	v_add_u32_e32 v14, 0x2180, v26
	s_waitcnt vmcnt(0)
	ds_write2_b32 v14, v24, v25 offset0:16 offset1:232
.LBB0_13:
	s_or_b64 exec, exec, s[4:5]
	v_lshlrev_b32_e32 v24, 2, v0
	v_add_u32_e32 v22, 0, v24
	v_add_u32_e32 v14, 0xd00, v22
	s_waitcnt lgkmcnt(0)
	s_barrier
	ds_read2_b32 v[16:17], v14 offset0:32 offset1:248
	v_add_u32_e32 v27, 0x1b00, v22
	ds_read2_b32 v[18:19], v27 offset1:216
	ds_read2_b32 v[20:21], v22 offset1:216
	v_add_u32_e32 v28, 0x1400, v22
	v_add_u32_e32 v29, 0x2180, v22
	s_movk_i32 s4, 0x3aee
	s_waitcnt lgkmcnt(1)
	v_pk_add_f16 v15, v16, v18
	s_waitcnt lgkmcnt(0)
	v_pk_fma_f16 v23, v15, 0.5, v20 op_sel_hi:[1,0,1] neg_lo:[1,0,0] neg_hi:[1,0,0]
	v_add_u32_e32 v15, 0x680, v22
	ds_read2_b32 v[25:26], v28 offset0:16 offset1:232
	ds_read2_b32 v[30:31], v29 offset0:16 offset1:232
	;; [unrolled: 1-line block ×3, first 2 shown]
	v_pk_add_f16 v34, v16, v18 neg_lo:[0,1] neg_hi:[0,1]
	v_pk_mul_f16 v34, v34, s4 op_sel_hi:[1,0]
	v_pk_add_f16 v35, v23, v34 op_sel:[0,1] op_sel_hi:[1,0]
	v_pk_add_f16 v23, v23, v34 op_sel:[0,1] op_sel_hi:[1,0] neg_lo:[0,1] neg_hi:[0,1]
	s_waitcnt lgkmcnt(1)
	v_pk_add_f16 v34, v25, v30
	s_waitcnt lgkmcnt(0)
	v_pk_fma_f16 v34, v34, 0.5, v32 op_sel_hi:[1,0,1] neg_lo:[1,0,0] neg_hi:[1,0,0]
	v_pk_add_f16 v36, v25, v30 neg_lo:[0,1] neg_hi:[0,1]
	v_pk_fma_f16 v37, v36, s4, v34 op_sel:[0,0,1] op_sel_hi:[1,0,0]
	v_pk_fma_f16 v34, v36, s4, v34 op_sel:[0,0,1] op_sel_hi:[1,0,0] neg_lo:[1,0,0] neg_hi:[1,0,0]
	v_lshrrev_b32_e32 v36, 16, v37
	v_mul_f16_e32 v38, 0x3aee, v34
	v_fma_f16 v38, v36, 0.5, v38
	v_mul_f16_e32 v36, 0xbaee, v36
	v_pk_add_f16 v16, v20, v16
	v_fma_f16 v36, v34, 0.5, v36
	v_pk_add_f16 v16, v16, v18
	v_pk_add_f16 v18, v32, v25
	v_add_f16_e32 v39, v35, v38
	v_add_f16_sdwa v40, v23, v36 dst_sel:DWORD dst_unused:UNUSED_PAD src0_sel:WORD_1 src1_sel:DWORD
	v_pk_add_f16 v18, v18, v30
	v_pack_b32_f16 v39, v39, v40
	v_mad_u32_u24 v20, v0, 20, v22
	v_pk_add_f16 v25, v16, v18
	s_mov_b32 s6, 0xffff
	s_barrier
	ds_write2_b32 v20, v25, v39 offset1:1
	v_bfi_b32 v25, s6, v37, v34
	s_mov_b32 s5, 0xbaee3aee
	v_pk_mul_f16 v30, v25, 0.5 op_sel_hi:[1,0]
	v_pk_fma_f16 v25, v25, s5, v30 op_sel:[0,0,1] op_sel_hi:[1,1,0] neg_lo:[0,0,1] neg_hi:[0,0,1]
	v_pk_add_f16 v16, v16, v18 neg_lo:[0,1] neg_hi:[0,1]
	v_bfi_b32 v18, s6, v23, v35
	v_pk_add_f16 v18, v18, v25
	ds_write2_b32 v20, v18, v16 offset0:2 offset1:3
	v_sub_f16_sdwa v18, v35, v25 dst_sel:DWORD dst_unused:UNUSED_PAD src0_sel:WORD_1 src1_sel:WORD_1
	v_pack_b32_f16 v25, v36, v25
	v_sub_f16_e32 v16, v35, v38
	v_pk_add_f16 v23, v23, v25 op_sel:[1,0] op_sel_hi:[0,1] neg_lo:[0,1] neg_hi:[0,1]
	v_alignbit_b32 v18, v18, v23, 16
	v_pack_b32_f16 v16, v16, v23
	ds_write2_b32 v20, v16, v18 offset0:4 offset1:5
	v_pk_add_f16 v16, v21, v17
	v_pk_add_f16 v18, v17, v19
	v_pk_add_f16 v17, v17, v19 neg_lo:[0,1] neg_hi:[0,1]
	v_pk_add_f16 v20, v26, v31
	v_pk_add_f16 v23, v26, v31 neg_lo:[0,1] neg_hi:[0,1]
	v_pk_fma_f16 v18, v18, 0.5, v21 op_sel_hi:[1,0,1] neg_lo:[1,0,0] neg_hi:[1,0,0]
	v_pk_fma_f16 v20, v20, 0.5, v33 op_sel_hi:[1,0,1] neg_lo:[1,0,0] neg_hi:[1,0,0]
	v_pk_mul_f16 v17, v17, s4 op_sel_hi:[1,0]
	v_pk_add_f16 v21, v18, v17 op_sel:[0,1] op_sel_hi:[1,0]
	v_pk_add_f16 v17, v18, v17 op_sel:[0,1] op_sel_hi:[1,0] neg_lo:[0,1] neg_hi:[0,1]
	v_pk_fma_f16 v18, v23, s4, v20 op_sel:[0,0,1] op_sel_hi:[1,0,0]
	v_pk_fma_f16 v20, v23, s4, v20 op_sel:[0,0,1] op_sel_hi:[1,0,0] neg_lo:[1,0,0] neg_hi:[1,0,0]
	v_lshrrev_b32_e32 v23, 16, v18
	v_mul_f16_e32 v25, 0x3aee, v20
	v_fma_f16 v25, v23, 0.5, v25
	v_mul_f16_e32 v23, 0xbaee, v23
	v_pk_add_f16 v16, v16, v19
	v_pk_add_f16 v19, v33, v26
	v_fma_f16 v26, v20, 0.5, v23
	v_bfi_b32 v18, s6, v18, v20
	v_pk_add_f16 v19, v19, v31
	v_add_f16_e32 v23, v21, v25
	v_add_f16_sdwa v30, v17, v26 dst_sel:DWORD dst_unused:UNUSED_PAD src0_sel:WORD_1 src1_sel:DWORD
	v_pk_mul_f16 v20, v18, 0.5 op_sel_hi:[1,0]
	v_pack_b32_f16 v30, v23, v30
	v_mul_i32_i24_e32 v23, 6, v4
	v_pk_add_f16 v31, v16, v19
	v_pk_fma_f16 v18, v18, s5, v20 op_sel:[0,0,1] op_sel_hi:[1,1,0] neg_lo:[0,0,1] neg_hi:[0,0,1]
	v_pk_add_f16 v16, v16, v19 neg_lo:[0,1] neg_hi:[0,1]
	v_bfi_b32 v19, s6, v17, v21
	v_lshl_add_u32 v23, v23, 2, 0
	v_pk_add_f16 v19, v19, v18
	ds_write2_b32 v23, v19, v16 offset0:2 offset1:3
	v_sub_f16_sdwa v19, v21, v18 dst_sel:DWORD dst_unused:UNUSED_PAD src0_sel:WORD_1 src1_sel:WORD_1
	v_pack_b32_f16 v18, v26, v18
	v_sub_f16_e32 v16, v21, v25
	v_pk_add_f16 v17, v17, v18 op_sel:[1,0] op_sel_hi:[0,1] neg_lo:[0,1] neg_hi:[0,1]
	v_alignbit_b32 v18, v19, v17, 16
	v_pack_b32_f16 v16, v16, v17
	s_movk_i32 s5, 0xab
	ds_write2_b32 v23, v16, v18 offset0:4 offset1:5
	v_mul_lo_u16_sdwa v16, v0, s5 dst_sel:DWORD dst_unused:UNUSED_PAD src0_sel:BYTE_0 src1_sel:DWORD
	v_lshrrev_b16_e32 v21, 10, v16
	v_mul_lo_u16_e32 v16, 6, v21
	v_sub_u16_e32 v39, v0, v16
	v_mov_b32_e32 v40, 5
	v_mul_u32_u24_sdwa v16, v39, v40 dst_sel:DWORD dst_unused:UNUSED_PAD src0_sel:BYTE_0 src1_sel:DWORD
	v_lshlrev_b32_e32 v16, 2, v16
	ds_write2_b32 v23, v31, v30 offset1:1
	s_waitcnt lgkmcnt(0)
	s_barrier
	global_load_dwordx4 v[17:20], v16, s[8:9]
	s_mov_b32 s5, 0xaaab
	v_mul_u32_u24_sdwa v25, v4, s5 dst_sel:DWORD dst_unused:UNUSED_PAD src0_sel:WORD_0 src1_sel:DWORD
	v_lshrrev_b32_e32 v41, 18, v25
	v_mul_lo_u16_e32 v25, 6, v41
	v_sub_u16_e32 v42, v4, v25
	v_mul_u32_u24_e32 v25, 5, v42
	v_lshlrev_b32_e32 v43, 2, v25
	global_load_dwordx4 v[31:34], v43, s[8:9]
	global_load_dword v44, v16, s[8:9] offset:16
	s_movk_i32 s5, 0xffec
	v_lshl_add_u32 v26, v10, 2, 0
	v_lshl_add_u32 v25, v12, 2, 0
	ds_read_b32 v16, v26
	v_mad_i32_i24 v30, v4, s5, v23
	ds_read_b32 v37, v25
	ds_read_b32 v45, v30
	ds_read_b32 v46, v22 offset:9504
	global_load_dword v43, v43, s[8:9] offset:16
	ds_read_b32 v52, v22 offset:2592
	ds_read_b32 v54, v22
	s_waitcnt lgkmcnt(5)
	v_lshrrev_b32_e32 v35, 16, v16
	s_mov_b32 s5, 0xbaee
	v_mul_u32_u24_e32 v21, 0x90, v21
	v_mul_u32_u24_e32 v41, 0x90, v41
	v_lshlrev_b32_e32 v42, 2, v42
	v_add3_u32 v41, 0, v41, v42
	s_mov_b32 s7, 0xe38f
	v_lshlrev_b64 v[12:13], 2, v[12:13]
	s_waitcnt vmcnt(3)
	v_mul_f16_sdwa v36, v17, v35 dst_sel:DWORD dst_unused:UNUSED_PAD src0_sel:WORD_1 src1_sel:DWORD
	v_fma_f16 v47, v17, v16, -v36
	v_mul_f16_sdwa v16, v17, v16 dst_sel:DWORD dst_unused:UNUSED_PAD src0_sel:WORD_1 src1_sel:DWORD
	v_fma_f16 v48, v17, v35, v16
	s_waitcnt lgkmcnt(4)
	v_lshrrev_b32_e32 v16, 16, v37
	v_add_u32_e32 v17, 0x1080, v22
	v_mul_f16_sdwa v38, v18, v16 dst_sel:DWORD dst_unused:UNUSED_PAD src0_sel:WORD_1 src1_sel:DWORD
	ds_read2_b32 v[35:36], v17 offset0:24 offset1:240
	v_fma_f16 v49, v18, v37, -v38
	v_mul_f16_sdwa v37, v18, v37 dst_sel:DWORD dst_unused:UNUSED_PAD src0_sel:WORD_1 src1_sel:DWORD
	v_fma_f16 v50, v18, v16, v37
	v_add_u32_e32 v16, 0x1780, v22
	ds_read2_b32 v[37:38], v16 offset0:8 offset1:224
	s_waitcnt lgkmcnt(1)
	v_lshrrev_b32_e32 v18, 16, v36
	v_mul_f16_sdwa v51, v19, v36 dst_sel:DWORD dst_unused:UNUSED_PAD src0_sel:WORD_1 src1_sel:DWORD
	v_fma_f16 v51, v19, v18, v51
	v_mul_f16_sdwa v18, v19, v18 dst_sel:DWORD dst_unused:UNUSED_PAD src0_sel:WORD_1 src1_sel:DWORD
	v_fma_f16 v36, v19, v36, -v18
	s_waitcnt lgkmcnt(0)
	v_lshrrev_b32_e32 v18, 16, v38
	v_mul_f16_sdwa v19, v20, v38 dst_sel:DWORD dst_unused:UNUSED_PAD src0_sel:WORD_1 src1_sel:DWORD
	v_fma_f16 v53, v20, v18, v19
	v_mul_f16_sdwa v18, v20, v18 dst_sel:DWORD dst_unused:UNUSED_PAD src0_sel:WORD_1 src1_sel:DWORD
	v_fma_f16 v38, v20, v38, -v18
	v_lshrrev_b32_e32 v18, 16, v52
	s_waitcnt vmcnt(2)
	v_mul_f16_sdwa v19, v18, v31 dst_sel:DWORD dst_unused:UNUSED_PAD src0_sel:DWORD src1_sel:WORD_1
	v_fma_f16 v55, v52, v31, -v19
	v_mul_f16_sdwa v19, v52, v31 dst_sel:DWORD dst_unused:UNUSED_PAD src0_sel:DWORD src1_sel:WORD_1
	v_fma_f16 v31, v18, v31, v19
	v_lshrrev_b32_e32 v18, 16, v35
	v_mul_f16_sdwa v19, v18, v32 dst_sel:DWORD dst_unused:UNUSED_PAD src0_sel:DWORD src1_sel:WORD_1
	v_fma_f16 v52, v35, v32, -v19
	v_mul_f16_sdwa v19, v35, v32 dst_sel:DWORD dst_unused:UNUSED_PAD src0_sel:DWORD src1_sel:WORD_1
	v_fma_f16 v32, v18, v32, v19
	v_add_u32_e32 v18, 0x1e00, v22
	ds_read2_b32 v[19:20], v18 offset0:24 offset1:240
	v_lshrrev_b32_e32 v35, 16, v37
	v_mul_f16_sdwa v56, v35, v33 dst_sel:DWORD dst_unused:UNUSED_PAD src0_sel:DWORD src1_sel:WORD_1
	v_fma_f16 v56, v37, v33, -v56
	v_mul_f16_sdwa v37, v37, v33 dst_sel:DWORD dst_unused:UNUSED_PAD src0_sel:DWORD src1_sel:WORD_1
	v_fma_f16 v33, v35, v33, v37
	s_waitcnt lgkmcnt(0)
	v_lshrrev_b32_e32 v35, 16, v19
	v_mul_f16_sdwa v37, v19, v34 dst_sel:DWORD dst_unused:UNUSED_PAD src0_sel:DWORD src1_sel:WORD_1
	v_fma_f16 v37, v35, v34, v37
	v_mul_f16_sdwa v35, v35, v34 dst_sel:DWORD dst_unused:UNUSED_PAD src0_sel:DWORD src1_sel:WORD_1
	v_fma_f16 v19, v19, v34, -v35
	v_lshrrev_b32_e32 v34, 16, v20
	s_waitcnt vmcnt(1)
	v_mul_f16_sdwa v35, v44, v34 dst_sel:DWORD dst_unused:UNUSED_PAD src0_sel:WORD_1 src1_sel:DWORD
	v_fma_f16 v35, v44, v20, -v35
	v_mul_f16_sdwa v20, v44, v20 dst_sel:DWORD dst_unused:UNUSED_PAD src0_sel:WORD_1 src1_sel:DWORD
	v_fma_f16 v20, v44, v34, v20
	v_lshrrev_b32_e32 v34, 16, v54
	v_add_f16_e32 v44, v34, v50
	v_add_f16_e32 v44, v44, v53
	v_sub_f16_e32 v57, v50, v53
	v_add_f16_e32 v50, v50, v53
	v_add_f16_e32 v53, v54, v49
	v_fma_f16 v34, v50, -0.5, v34
	v_add_f16_e32 v50, v49, v38
	v_add_f16_e32 v53, v53, v38
	v_sub_f16_e32 v38, v49, v38
	v_add_f16_e32 v49, v48, v51
	v_fma_f16 v50, v50, -0.5, v54
	v_add_f16_e32 v49, v49, v20
	v_sub_f16_e32 v54, v51, v20
	v_add_f16_e32 v20, v51, v20
	v_fma_f16 v20, v20, -0.5, v48
	v_add_f16_e32 v48, v36, v35
	v_fma_f16 v48, v48, -0.5, v47
	v_add_f16_e32 v47, v47, v36
	v_add_f16_e32 v47, v47, v35
	v_sub_f16_e32 v35, v36, v35
	v_fma_f16 v51, v35, s5, v20
	v_fma_f16 v36, v54, s4, v48
	v_mul_f16_e32 v58, 0x3aee, v51
	v_fma_f16 v58, v36, 0.5, v58
	v_mul_f16_e32 v36, 0xbaee, v36
	v_fma_f16 v36, v51, 0.5, v36
	v_mov_b32_e32 v51, 2
	v_lshlrev_b32_sdwa v39, v51, v39 dst_sel:DWORD dst_unused:UNUSED_PAD src0_sel:DWORD src1_sel:BYTE_0
	v_add3_u32 v21, 0, v21, v39
	v_add_f16_e32 v39, v53, v47
	v_add_f16_e32 v59, v44, v49
	v_pack_b32_f16 v39, v39, v59
	v_fma_f16 v59, v57, s4, v50
	v_fma_f16 v60, v38, s5, v34
	;; [unrolled: 1-line block ×4, first 2 shown]
	v_add_f16_e32 v61, v59, v58
	v_add_f16_e32 v62, v60, v36
	v_fma_f16 v20, v35, s4, v20
	v_mul_f16_e32 v35, -0.5, v38
	v_pack_b32_f16 v61, v61, v62
	v_fma_f16 v35, v20, s4, v35
	v_mul_f16_e32 v20, -0.5, v20
	s_waitcnt vmcnt(0)
	s_barrier
	ds_write2_b32 v21, v39, v61 offset1:6
	v_fma_f16 v39, v57, s5, v50
	v_fma_f16 v20, v38, s5, v20
	v_sub_f16_e32 v38, v53, v47
	v_sub_f16_e32 v44, v44, v49
	v_add_f16_e32 v47, v39, v35
	v_add_f16_e32 v48, v34, v20
	v_pack_b32_f16 v47, v47, v48
	v_pack_b32_f16 v38, v38, v44
	ds_write2_b32 v21, v47, v38 offset0:12 offset1:18
	v_sub_f16_e32 v38, v59, v58
	v_sub_f16_e32 v35, v39, v35
	;; [unrolled: 1-line block ×4, first 2 shown]
	v_pack_b32_f16 v34, v38, v36
	v_pack_b32_f16 v20, v35, v20
	ds_write2_b32 v21, v34, v20 offset0:24 offset1:30
	v_lshrrev_b32_e32 v20, 16, v46
	v_mul_f16_sdwa v34, v46, v43 dst_sel:DWORD dst_unused:UNUSED_PAD src0_sel:DWORD src1_sel:WORD_1
	v_mul_f16_sdwa v21, v20, v43 dst_sel:DWORD dst_unused:UNUSED_PAD src0_sel:DWORD src1_sel:WORD_1
	v_fma_f16 v20, v20, v43, v34
	v_add_f16_e32 v38, v31, v33
	v_fma_f16 v21, v46, v43, -v21
	v_lshrrev_b32_e32 v34, 16, v45
	v_add_f16_e32 v38, v38, v20
	v_sub_f16_e32 v39, v33, v20
	v_add_f16_e32 v20, v33, v20
	v_add_f16_e32 v33, v55, v56
	;; [unrolled: 1-line block ×3, first 2 shown]
	v_sub_f16_e32 v36, v32, v37
	v_add_f16_e32 v32, v32, v37
	v_fma_f16 v20, v20, -0.5, v31
	v_add_f16_e32 v31, v56, v21
	v_add_f16_e32 v33, v33, v21
	v_sub_f16_e32 v21, v56, v21
	v_fma_f16 v32, v32, -0.5, v34
	v_add_f16_e32 v34, v52, v19
	v_fma_f16 v31, v31, -0.5, v55
	v_fma_f16 v44, v21, s5, v20
	v_add_f16_e32 v35, v35, v37
	v_fma_f16 v34, v34, -0.5, v45
	v_add_f16_e32 v37, v45, v52
	v_fma_f16 v43, v39, s4, v31
	v_mul_f16_e32 v45, 0x3aee, v44
	v_fma_f16 v31, v39, s5, v31
	v_add_f16_e32 v37, v37, v19
	v_fma_f16 v45, v43, 0.5, v45
	v_mul_f16_e32 v43, 0xbaee, v43
	v_fma_f16 v20, v21, s4, v20
	v_mul_f16_e32 v21, -0.5, v31
	v_sub_f16_e32 v19, v52, v19
	v_fma_f16 v43, v44, 0.5, v43
	v_add_f16_e32 v42, v37, v33
	v_add_f16_e32 v44, v35, v38
	v_fma_f16 v21, v20, s4, v21
	v_mul_f16_e32 v20, -0.5, v20
	v_pack_b32_f16 v42, v42, v44
	v_fma_f16 v44, v36, s4, v34
	v_fma_f16 v46, v19, s5, v32
	v_fma_f16 v34, v36, s5, v34
	v_fma_f16 v19, v19, s4, v32
	v_fma_f16 v20, v31, s5, v20
	v_sub_f16_e32 v31, v37, v33
	v_sub_f16_e32 v32, v35, v38
	v_add_f16_e32 v33, v34, v21
	v_add_f16_e32 v35, v19, v20
	v_pack_b32_f16 v33, v33, v35
	v_pack_b32_f16 v31, v31, v32
	ds_write2_b32 v41, v33, v31 offset0:12 offset1:18
	v_sub_f16_e32 v31, v44, v45
	v_sub_f16_e32 v21, v34, v21
	;; [unrolled: 1-line block ×4, first 2 shown]
	v_pack_b32_f16 v20, v31, v32
	v_pack_b32_f16 v19, v21, v19
	ds_write2_b32 v41, v20, v19 offset0:24 offset1:30
	v_mov_b32_e32 v19, 57
	v_mul_lo_u16_sdwa v19, v0, v19 dst_sel:DWORD dst_unused:UNUSED_PAD src0_sel:BYTE_0 src1_sel:DWORD
	v_lshrrev_b16_e32 v21, 11, v19
	v_mul_lo_u16_e32 v19, 36, v21
	v_sub_u16_e32 v39, v0, v19
	v_add_f16_e32 v47, v44, v45
	v_add_f16_e32 v48, v46, v43
	v_mul_u32_u24_sdwa v19, v39, v40 dst_sel:DWORD dst_unused:UNUSED_PAD src0_sel:BYTE_0 src1_sel:DWORD
	v_pack_b32_f16 v47, v47, v48
	v_lshlrev_b32_e32 v19, 2, v19
	ds_write2_b32 v41, v42, v47 offset1:6
	s_waitcnt lgkmcnt(0)
	s_barrier
	global_load_dwordx4 v[31:34], v19, s[8:9] offset:120
	v_mul_u32_u24_sdwa v20, v4, s7 dst_sel:DWORD dst_unused:UNUSED_PAD src0_sel:WORD_0 src1_sel:DWORD
	v_lshrrev_b32_e32 v40, 21, v20
	v_mul_lo_u16_e32 v20, 36, v40
	v_sub_u16_e32 v41, v4, v20
	v_mul_u32_u24_e32 v20, 5, v41
	v_lshlrev_b32_e32 v20, 2, v20
	global_load_dwordx4 v[35:38], v20, s[8:9] offset:120
	global_load_dword v42, v19, s[8:9] offset:136
	global_load_dword v43, v20, s[8:9] offset:136
	ds_read_b32 v19, v26
	ds_read_b32 v44, v25
	ds_read_b32 v45, v30
	ds_read_b32 v46, v22 offset:9504
	ds_read_b32 v53, v22 offset:2592
	v_lshlrev_b32_sdwa v39, v51, v39 dst_sel:DWORD dst_unused:UNUSED_PAD src0_sel:DWORD src1_sel:BYTE_0
	v_mul_u32_u24_e32 v21, 0x360, v21
	s_waitcnt lgkmcnt(4)
	v_lshrrev_b32_e32 v20, 16, v19
	v_add3_u32 v21, 0, v21, v39
	v_mul_u32_u24_e32 v40, 0x360, v40
	v_lshlrev_b32_e32 v41, 2, v41
	v_add3_u32 v40, 0, v40, v41
	s_add_u32 s7, s8, 0x2868
	s_waitcnt vmcnt(3)
	v_mul_f16_sdwa v47, v31, v20 dst_sel:DWORD dst_unused:UNUSED_PAD src0_sel:WORD_1 src1_sel:DWORD
	v_fma_f16 v47, v31, v19, -v47
	v_mul_f16_sdwa v19, v31, v19 dst_sel:DWORD dst_unused:UNUSED_PAD src0_sel:WORD_1 src1_sel:DWORD
	v_fma_f16 v48, v31, v20, v19
	s_waitcnt lgkmcnt(3)
	v_lshrrev_b32_e32 v31, 16, v44
	ds_read2_b32 v[19:20], v17 offset0:24 offset1:240
	v_mul_f16_sdwa v49, v32, v31 dst_sel:DWORD dst_unused:UNUSED_PAD src0_sel:WORD_1 src1_sel:DWORD
	v_fma_f16 v49, v32, v44, -v49
	v_mul_f16_sdwa v44, v32, v44 dst_sel:DWORD dst_unused:UNUSED_PAD src0_sel:WORD_1 src1_sel:DWORD
	v_fma_f16 v44, v32, v31, v44
	ds_read2_b32 v[31:32], v16 offset0:8 offset1:224
	s_waitcnt lgkmcnt(1)
	v_lshrrev_b32_e32 v50, 16, v20
	v_mul_f16_sdwa v52, v33, v20 dst_sel:DWORD dst_unused:UNUSED_PAD src0_sel:WORD_1 src1_sel:DWORD
	v_fma_f16 v52, v33, v50, v52
	v_mul_f16_sdwa v50, v33, v50 dst_sel:DWORD dst_unused:UNUSED_PAD src0_sel:WORD_1 src1_sel:DWORD
	v_fma_f16 v33, v33, v20, -v50
	s_waitcnt lgkmcnt(0)
	v_lshrrev_b32_e32 v20, 16, v32
	v_mul_f16_sdwa v50, v34, v32 dst_sel:DWORD dst_unused:UNUSED_PAD src0_sel:WORD_1 src1_sel:DWORD
	v_fma_f16 v50, v34, v20, v50
	v_mul_f16_sdwa v20, v34, v20 dst_sel:DWORD dst_unused:UNUSED_PAD src0_sel:WORD_1 src1_sel:DWORD
	v_fma_f16 v32, v34, v32, -v20
	ds_read_b32 v34, v22
	v_lshrrev_b32_e32 v20, 16, v53
	s_waitcnt vmcnt(2)
	v_mul_f16_sdwa v54, v20, v35 dst_sel:DWORD dst_unused:UNUSED_PAD src0_sel:DWORD src1_sel:WORD_1
	v_fma_f16 v54, v53, v35, -v54
	v_mul_f16_sdwa v53, v53, v35 dst_sel:DWORD dst_unused:UNUSED_PAD src0_sel:DWORD src1_sel:WORD_1
	v_fma_f16 v35, v20, v35, v53
	v_lshrrev_b32_e32 v20, 16, v19
	v_mul_f16_sdwa v53, v20, v36 dst_sel:DWORD dst_unused:UNUSED_PAD src0_sel:DWORD src1_sel:WORD_1
	v_fma_f16 v53, v19, v36, -v53
	v_mul_f16_sdwa v19, v19, v36 dst_sel:DWORD dst_unused:UNUSED_PAD src0_sel:DWORD src1_sel:WORD_1
	v_fma_f16 v36, v20, v36, v19
	ds_read2_b32 v[19:20], v18 offset0:24 offset1:240
	v_lshrrev_b32_e32 v55, 16, v31
	v_mul_f16_sdwa v56, v55, v37 dst_sel:DWORD dst_unused:UNUSED_PAD src0_sel:DWORD src1_sel:WORD_1
	v_fma_f16 v56, v31, v37, -v56
	v_mul_f16_sdwa v31, v31, v37 dst_sel:DWORD dst_unused:UNUSED_PAD src0_sel:DWORD src1_sel:WORD_1
	v_fma_f16 v31, v55, v37, v31
	s_waitcnt lgkmcnt(0)
	v_lshrrev_b32_e32 v37, 16, v19
	v_mul_f16_sdwa v55, v19, v38 dst_sel:DWORD dst_unused:UNUSED_PAD src0_sel:DWORD src1_sel:WORD_1
	v_fma_f16 v55, v37, v38, v55
	v_mul_f16_sdwa v37, v37, v38 dst_sel:DWORD dst_unused:UNUSED_PAD src0_sel:DWORD src1_sel:WORD_1
	v_fma_f16 v19, v19, v38, -v37
	v_lshrrev_b32_e32 v37, 16, v20
	s_waitcnt vmcnt(1)
	v_mul_f16_sdwa v38, v42, v37 dst_sel:DWORD dst_unused:UNUSED_PAD src0_sel:WORD_1 src1_sel:DWORD
	v_fma_f16 v38, v42, v20, -v38
	v_mul_f16_sdwa v20, v42, v20 dst_sel:DWORD dst_unused:UNUSED_PAD src0_sel:WORD_1 src1_sel:DWORD
	v_fma_f16 v20, v42, v37, v20
	v_lshrrev_b32_e32 v37, 16, v34
	v_add_f16_e32 v42, v37, v44
	v_sub_f16_e32 v57, v44, v50
	v_add_f16_e32 v44, v44, v50
	v_fma_f16 v37, v44, -0.5, v37
	v_add_f16_e32 v44, v49, v32
	v_fma_f16 v44, v44, -0.5, v34
	v_add_f16_e32 v34, v34, v49
	v_add_f16_e32 v34, v34, v32
	v_sub_f16_e32 v32, v49, v32
	v_add_f16_e32 v49, v48, v52
	v_add_f16_e32 v42, v42, v50
	;; [unrolled: 1-line block ×3, first 2 shown]
	v_sub_f16_e32 v50, v52, v20
	v_add_f16_e32 v20, v52, v20
	v_fma_f16 v20, v20, -0.5, v48
	v_add_f16_e32 v48, v33, v38
	v_fma_f16 v48, v48, -0.5, v47
	v_add_f16_e32 v47, v47, v33
	v_sub_f16_e32 v33, v33, v38
	v_fma_f16 v52, v33, s5, v20
	v_add_f16_e32 v47, v47, v38
	v_fma_f16 v38, v50, s4, v48
	v_mul_f16_e32 v58, 0x3aee, v52
	v_fma_f16 v58, v38, 0.5, v58
	v_mul_f16_e32 v38, 0xbaee, v38
	v_add_f16_e32 v39, v34, v47
	v_add_f16_e32 v51, v42, v49
	v_fma_f16 v38, v52, 0.5, v38
	v_pack_b32_f16 v39, v39, v51
	v_fma_f16 v51, v57, s4, v44
	v_fma_f16 v52, v32, s5, v37
	;; [unrolled: 1-line block ×4, first 2 shown]
	v_add_f16_e32 v59, v51, v58
	v_add_f16_e32 v60, v52, v38
	v_fma_f16 v20, v33, s4, v20
	v_mul_f16_e32 v33, -0.5, v37
	v_pack_b32_f16 v59, v59, v60
	v_fma_f16 v33, v20, s4, v33
	v_mul_f16_e32 v20, -0.5, v20
	s_waitcnt vmcnt(0)
	s_barrier
	ds_write2_b32 v21, v39, v59 offset1:36
	v_fma_f16 v39, v57, s5, v44
	v_fma_f16 v20, v37, s5, v20
	v_sub_f16_e32 v34, v34, v47
	v_sub_f16_e32 v37, v42, v49
	v_add_f16_e32 v42, v39, v33
	v_add_f16_e32 v44, v32, v20
	v_pack_b32_f16 v42, v42, v44
	v_pack_b32_f16 v34, v34, v37
	ds_write2_b32 v21, v42, v34 offset0:72 offset1:108
	v_sub_f16_e32 v34, v51, v58
	v_sub_f16_e32 v33, v39, v33
	;; [unrolled: 1-line block ×4, first 2 shown]
	v_pack_b32_f16 v32, v34, v37
	v_pack_b32_f16 v20, v33, v20
	ds_write2_b32 v21, v32, v20 offset0:144 offset1:180
	v_lshrrev_b32_e32 v20, 16, v46
	v_mul_f16_sdwa v32, v46, v43 dst_sel:DWORD dst_unused:UNUSED_PAD src0_sel:DWORD src1_sel:WORD_1
	v_mul_f16_sdwa v21, v20, v43 dst_sel:DWORD dst_unused:UNUSED_PAD src0_sel:DWORD src1_sel:WORD_1
	v_fma_f16 v20, v20, v43, v32
	v_add_f16_e32 v38, v35, v31
	v_add_f16_e32 v38, v38, v20
	v_sub_f16_e32 v39, v31, v20
	v_add_f16_e32 v20, v31, v20
	v_fma_f16 v21, v46, v43, -v21
	v_fma_f16 v20, v20, -0.5, v35
	v_add_f16_e32 v35, v54, v56
	v_add_f16_e32 v31, v56, v21
	;; [unrolled: 1-line block ×3, first 2 shown]
	v_sub_f16_e32 v21, v56, v21
	v_lshrrev_b32_e32 v32, 16, v45
	v_fma_f16 v31, v31, -0.5, v54
	v_fma_f16 v43, v21, s5, v20
	v_add_f16_e32 v33, v32, v36
	v_sub_f16_e32 v34, v36, v55
	v_add_f16_e32 v36, v36, v55
	v_add_f16_e32 v37, v45, v53
	v_fma_f16 v42, v39, s4, v31
	v_mul_f16_e32 v44, 0x3aee, v43
	v_fma_f16 v31, v39, s5, v31
	v_add_f16_e32 v33, v33, v55
	v_fma_f16 v32, v36, -0.5, v32
	v_add_f16_e32 v36, v53, v19
	v_add_f16_e32 v37, v37, v19
	v_fma_f16 v44, v42, 0.5, v44
	v_mul_f16_e32 v42, 0xbaee, v42
	v_fma_f16 v20, v21, s4, v20
	v_mul_f16_e32 v21, -0.5, v31
	v_fma_f16 v36, v36, -0.5, v45
	v_sub_f16_e32 v19, v53, v19
	v_fma_f16 v42, v43, 0.5, v42
	v_add_f16_e32 v41, v37, v35
	v_add_f16_e32 v43, v33, v38
	v_fma_f16 v21, v20, s4, v21
	v_mul_f16_e32 v20, -0.5, v20
	v_pack_b32_f16 v41, v41, v43
	v_fma_f16 v43, v34, s4, v36
	v_fma_f16 v45, v19, s5, v32
	;; [unrolled: 1-line block ×5, first 2 shown]
	v_sub_f16_e32 v31, v37, v35
	v_sub_f16_e32 v32, v33, v38
	v_add_f16_e32 v33, v34, v21
	v_add_f16_e32 v35, v19, v20
	v_pack_b32_f16 v33, v33, v35
	v_pack_b32_f16 v31, v31, v32
	ds_write2_b32 v40, v33, v31 offset0:72 offset1:108
	v_sub_f16_e32 v31, v43, v44
	v_sub_f16_e32 v21, v34, v21
	;; [unrolled: 1-line block ×4, first 2 shown]
	v_pack_b32_f16 v20, v31, v32
	v_pack_b32_f16 v19, v21, v19
	v_add_f16_e32 v46, v43, v44
	v_add_f16_e32 v47, v45, v42
	ds_write2_b32 v40, v20, v19 offset0:144 offset1:180
	v_mul_u32_u24_e32 v19, 5, v0
	v_pack_b32_f16 v46, v46, v47
	v_lshlrev_b32_e32 v19, 2, v19
	ds_write2_b32 v40, v41, v46 offset1:36
	s_waitcnt lgkmcnt(0)
	s_barrier
	global_load_dwordx4 v[31:34], v19, s[8:9] offset:840
	global_load_dword v21, v19, s[8:9] offset:856
	ds_read_b32 v19, v26
	ds_read_b32 v20, v25
	;; [unrolled: 1-line block ×3, first 2 shown]
	ds_read_b32 v36, v22 offset:9504
	ds_read_b32 v40, v22 offset:2592
	ds_read_b32 v42, v22
	s_waitcnt lgkmcnt(5)
	v_lshrrev_b32_e32 v37, 16, v19
	s_waitcnt lgkmcnt(1)
	v_lshrrev_b32_e32 v43, 16, v40
	s_waitcnt vmcnt(1)
	v_mul_f16_sdwa v38, v31, v37 dst_sel:DWORD dst_unused:UNUSED_PAD src0_sel:WORD_1 src1_sel:DWORD
	v_fma_f16 v38, v31, v19, -v38
	v_mul_f16_sdwa v19, v31, v19 dst_sel:DWORD dst_unused:UNUSED_PAD src0_sel:WORD_1 src1_sel:DWORD
	v_fma_f16 v37, v31, v37, v19
	v_lshrrev_b32_e32 v19, 16, v20
	v_mul_f16_sdwa v39, v32, v19 dst_sel:DWORD dst_unused:UNUSED_PAD src0_sel:WORD_1 src1_sel:DWORD
	v_fma_f16 v39, v32, v20, -v39
	v_mul_f16_sdwa v20, v32, v20 dst_sel:DWORD dst_unused:UNUSED_PAD src0_sel:WORD_1 src1_sel:DWORD
	v_fma_f16 v41, v32, v19, v20
	ds_read2_b32 v[19:20], v17 offset0:24 offset1:240
	v_mul_f16_sdwa v17, v43, v31 dst_sel:DWORD dst_unused:UNUSED_PAD src0_sel:DWORD src1_sel:WORD_1
	v_fma_f16 v44, v40, v31, -v17
	v_mul_f16_sdwa v17, v40, v31 dst_sel:DWORD dst_unused:UNUSED_PAD src0_sel:DWORD src1_sel:WORD_1
	v_fma_f16 v31, v43, v31, v17
	s_waitcnt lgkmcnt(0)
	v_lshrrev_b32_e32 v17, 16, v20
	v_mul_f16_sdwa v40, v33, v20 dst_sel:DWORD dst_unused:UNUSED_PAD src0_sel:WORD_1 src1_sel:DWORD
	v_fma_f16 v40, v33, v17, v40
	v_mul_f16_sdwa v17, v33, v17 dst_sel:DWORD dst_unused:UNUSED_PAD src0_sel:WORD_1 src1_sel:DWORD
	v_fma_f16 v20, v33, v20, -v17
	ds_read2_b32 v[16:17], v16 offset0:8 offset1:224
	v_lshrrev_b32_e32 v43, 16, v19
	v_mul_f16_sdwa v45, v43, v32 dst_sel:DWORD dst_unused:UNUSED_PAD src0_sel:DWORD src1_sel:WORD_1
	v_fma_f16 v45, v19, v32, -v45
	v_mul_f16_sdwa v19, v19, v32 dst_sel:DWORD dst_unused:UNUSED_PAD src0_sel:DWORD src1_sel:WORD_1
	v_fma_f16 v19, v43, v32, v19
	s_waitcnt lgkmcnt(0)
	v_lshrrev_b32_e32 v32, 16, v17
	v_mul_f16_sdwa v43, v34, v17 dst_sel:DWORD dst_unused:UNUSED_PAD src0_sel:WORD_1 src1_sel:DWORD
	v_fma_f16 v43, v34, v32, v43
	v_mul_f16_sdwa v32, v34, v32 dst_sel:DWORD dst_unused:UNUSED_PAD src0_sel:WORD_1 src1_sel:DWORD
	v_fma_f16 v32, v34, v17, -v32
	ds_read2_b32 v[17:18], v18 offset0:24 offset1:240
	v_lshrrev_b32_e32 v46, 16, v16
	v_mul_f16_sdwa v47, v46, v33 dst_sel:DWORD dst_unused:UNUSED_PAD src0_sel:DWORD src1_sel:WORD_1
	v_fma_f16 v47, v16, v33, -v47
	v_mul_f16_sdwa v16, v16, v33 dst_sel:DWORD dst_unused:UNUSED_PAD src0_sel:DWORD src1_sel:WORD_1
	v_fma_f16 v16, v46, v33, v16
	s_waitcnt lgkmcnt(0)
	v_lshrrev_b32_e32 v33, 16, v17
	v_mul_f16_sdwa v46, v17, v34 dst_sel:DWORD dst_unused:UNUSED_PAD src0_sel:DWORD src1_sel:WORD_1
	v_fma_f16 v46, v33, v34, v46
	v_mul_f16_sdwa v33, v33, v34 dst_sel:DWORD dst_unused:UNUSED_PAD src0_sel:DWORD src1_sel:WORD_1
	v_fma_f16 v17, v17, v34, -v33
	v_lshrrev_b32_e32 v33, 16, v18
	s_waitcnt vmcnt(0)
	v_mul_f16_sdwa v34, v21, v33 dst_sel:DWORD dst_unused:UNUSED_PAD src0_sel:WORD_1 src1_sel:DWORD
	v_fma_f16 v34, v21, v18, -v34
	v_mul_f16_sdwa v18, v21, v18 dst_sel:DWORD dst_unused:UNUSED_PAD src0_sel:WORD_1 src1_sel:DWORD
	v_fma_f16 v18, v21, v33, v18
	v_lshrrev_b32_e32 v33, 16, v42
	v_add_f16_e32 v48, v33, v41
	v_sub_f16_e32 v49, v41, v43
	v_add_f16_e32 v41, v41, v43
	v_fma_f16 v33, v41, -0.5, v33
	v_add_f16_e32 v41, v39, v32
	v_fma_f16 v41, v41, -0.5, v42
	v_add_f16_e32 v42, v42, v39
	v_add_f16_e32 v42, v42, v32
	v_sub_f16_e32 v32, v39, v32
	v_add_f16_e32 v39, v37, v40
	v_add_f16_e32 v48, v48, v43
	;; [unrolled: 1-line block ×3, first 2 shown]
	v_sub_f16_e32 v43, v40, v18
	v_add_f16_e32 v18, v40, v18
	v_fma_f16 v18, v18, -0.5, v37
	v_add_f16_e32 v37, v20, v34
	v_fma_f16 v37, v37, -0.5, v38
	v_add_f16_e32 v38, v38, v20
	v_add_f16_e32 v38, v38, v34
	v_sub_f16_e32 v20, v20, v34
	v_fma_f16 v34, v43, s5, v37
	v_fma_f16 v40, v20, s4, v18
	v_mul_f16_e32 v50, -0.5, v34
	v_fma_f16 v50, v40, s4, v50
	v_mul_f16_e32 v40, -0.5, v40
	v_fma_f16 v34, v34, s5, v40
	v_fma_f16 v40, v49, s5, v41
	;; [unrolled: 1-line block ×3, first 2 shown]
	v_add_f16_e32 v52, v40, v50
	v_add_f16_e32 v53, v51, v34
	v_fma_f16 v18, v20, s5, v18
	v_pack_b32_f16 v52, v52, v53
	v_sub_f16_e32 v53, v42, v38
	v_sub_f16_e32 v54, v48, v39
	v_fma_f16 v32, v32, s5, v33
	v_fma_f16 v33, v43, s4, v37
	v_mul_f16_e32 v20, 0x3aee, v18
	v_pack_b32_f16 v53, v53, v54
	v_fma_f16 v20, v33, 0.5, v20
	v_mul_f16_e32 v33, 0xbaee, v33
	s_barrier
	ds_write2_b32 v15, v52, v53 offset0:16 offset1:232
	v_fma_f16 v15, v49, s4, v41
	v_fma_f16 v18, v18, 0.5, v33
	v_sub_f16_e32 v33, v40, v50
	v_sub_f16_e32 v34, v51, v34
	;; [unrolled: 1-line block ×4, first 2 shown]
	v_pack_b32_f16 v37, v37, v40
	v_pack_b32_f16 v33, v33, v34
	ds_write2_b32 v14, v37, v33 offset0:32 offset1:248
	v_lshrrev_b32_e32 v14, 16, v36
	v_mul_f16_sdwa v33, v14, v21 dst_sel:DWORD dst_unused:UNUSED_PAD src0_sel:DWORD src1_sel:WORD_1
	v_mul_f16_sdwa v34, v36, v21 dst_sel:DWORD dst_unused:UNUSED_PAD src0_sel:DWORD src1_sel:WORD_1
	v_fma_f16 v33, v36, v21, -v33
	v_fma_f16 v14, v14, v21, v34
	v_add_f16_e32 v21, v42, v38
	v_add_f16_e32 v15, v15, v20
	;; [unrolled: 1-line block ×5, first 2 shown]
	v_pack_b32_f16 v20, v21, v20
	v_pack_b32_f16 v15, v15, v18
	v_add_f16_e32 v32, v32, v14
	v_sub_f16_e32 v34, v16, v14
	v_add_f16_e32 v14, v16, v14
	ds_write2_b32 v22, v20, v15 offset1:216
	v_lshrrev_b32_e32 v15, 16, v35
	v_fma_f16 v14, v14, -0.5, v31
	v_add_f16_e32 v31, v44, v47
	v_add_f16_e32 v18, v15, v19
	v_sub_f16_e32 v20, v19, v46
	v_add_f16_e32 v19, v19, v46
	v_add_f16_e32 v16, v47, v33
	v_add_f16_e32 v31, v31, v33
	v_sub_f16_e32 v33, v47, v33
	v_fma_f16 v15, v19, -0.5, v15
	v_add_f16_e32 v19, v45, v17
	v_add_f16_e32 v21, v35, v45
	v_fma_f16 v16, v16, -0.5, v44
	v_fma_f16 v36, v33, s5, v14
	v_fma_f16 v19, v19, -0.5, v35
	v_add_f16_e32 v21, v21, v17
	v_sub_f16_e32 v17, v45, v17
	v_fma_f16 v35, v34, s4, v16
	v_mul_f16_e32 v37, 0x3aee, v36
	v_fma_f16 v16, v34, s5, v16
	v_add_f16_e32 v18, v18, v46
	v_fma_f16 v37, v35, 0.5, v37
	v_mul_f16_e32 v35, 0xbaee, v35
	v_fma_f16 v39, v17, s5, v15
	v_fma_f16 v15, v17, s4, v15
	v_fma_f16 v14, v33, s4, v14
	v_mul_f16_e32 v17, -0.5, v16
	v_fma_f16 v35, v36, 0.5, v35
	v_add_f16_e32 v36, v21, v31
	v_add_f16_e32 v38, v18, v32
	v_fma_f16 v17, v14, s4, v17
	v_mul_f16_e32 v14, -0.5, v14
	v_pack_b32_f16 v36, v36, v38
	v_fma_f16 v38, v20, s4, v19
	v_fma_f16 v19, v20, s5, v19
	;; [unrolled: 1-line block ×3, first 2 shown]
	v_sub_f16_e32 v16, v21, v31
	v_sub_f16_e32 v18, v18, v32
	v_add_f16_e32 v20, v19, v17
	v_add_f16_e32 v21, v15, v14
	v_pack_b32_f16 v20, v20, v21
	v_pack_b32_f16 v16, v16, v18
	ds_write2_b32 v27, v20, v16 offset1:216
	v_sub_f16_e32 v16, v38, v37
	v_sub_f16_e32 v17, v19, v17
	;; [unrolled: 1-line block ×4, first 2 shown]
	v_pack_b32_f16 v15, v16, v18
	v_pack_b32_f16 v14, v17, v14
	ds_write2_b32 v29, v15, v14 offset0:16 offset1:232
	v_lshlrev_b64 v[14:15], 2, v[8:9]
	v_add_f16_e32 v40, v38, v37
	v_mov_b32_e32 v37, s9
	v_add_co_u32_e32 v9, vcc, s8, v14
	s_movk_i32 s4, 0x1000
	v_addc_co_u32_e32 v17, vcc, v37, v15, vcc
	v_add_co_u32_e32 v16, vcc, s4, v9
	v_lshlrev_b64 v[20:21], 2, v[0:1]
	v_addc_co_u32_e32 v17, vcc, 0, v17, vcc
	v_add_co_u32_e32 v1, vcc, s8, v20
	v_addc_co_u32_e32 v9, vcc, v37, v21, vcc
	v_add_co_u32_e32 v31, vcc, s4, v1
	v_addc_co_u32_e32 v32, vcc, 0, v9, vcc
	v_add_f16_e32 v41, v39, v35
	v_add_co_u32_e32 v1, vcc, s8, v12
	v_pack_b32_f16 v40, v40, v41
	v_addc_co_u32_e32 v9, vcc, v37, v13, vcc
	ds_write2_b32 v28, v36, v40 offset0:16 offset1:232
	s_waitcnt lgkmcnt(0)
	s_barrier
	global_load_dword v38, v[16:17], off offset:1064
	v_add_co_u32_e32 v18, vcc, s4, v1
	v_lshlrev_b64 v[16:17], 2, v[6:7]
	v_addc_co_u32_e32 v19, vcc, 0, v9, vcc
	v_add_co_u32_e32 v1, vcc, s8, v16
	v_addc_co_u32_e32 v7, vcc, v37, v17, vcc
	v_add_co_u32_e32 v33, vcc, s4, v1
	v_lshlrev_b64 v[9:10], 2, v[10:11]
	v_addc_co_u32_e32 v34, vcc, 0, v7, vcc
	v_add_co_u32_e32 v1, vcc, s8, v9
	v_addc_co_u32_e32 v7, vcc, v37, v10, vcc
	v_add_co_u32_e32 v35, vcc, s4, v1
	v_addc_co_u32_e32 v36, vcc, 0, v7, vcc
	global_load_dword v1, v[18:19], off offset:1064
	global_load_dword v7, v[33:34], off offset:1064
	;; [unrolled: 1-line block ×3, first 2 shown]
	v_lshlrev_b64 v[18:19], 2, v[4:5]
	v_add_co_u32_e32 v5, vcc, s8, v18
	v_addc_co_u32_e32 v34, vcc, v37, v19, vcc
	v_add_co_u32_e32 v33, vcc, s4, v5
	v_addc_co_u32_e32 v34, vcc, 0, v34, vcc
	global_load_dword v5, v[33:34], off offset:1064
	global_load_dword v35, v[31:32], off offset:1064
	ds_read2_b32 v[31:32], v29 offset0:16 offset1:232
	ds_read2_b32 v[33:34], v27 offset1:216
	s_addc_u32 s8, s9, 0
	v_cmp_ne_u32_e32 vcc, 0, v0
	s_waitcnt vmcnt(5) lgkmcnt(1)
	v_pk_mul_f16 v29, v32, v38 op_sel:[0,1]
	v_pk_fma_f16 v36, v32, v38, v29 op_sel:[0,0,1] op_sel_hi:[1,1,0] neg_lo:[0,0,1] neg_hi:[0,0,1]
	v_pk_fma_f16 v29, v32, v38, v29 op_sel:[0,0,1] op_sel_hi:[1,0,0]
	s_waitcnt vmcnt(4)
	v_pk_mul_f16 v27, v1, v31 op_sel:[0,1]
	v_pk_fma_f16 v32, v1, v31, v27 op_sel:[0,0,1] op_sel_hi:[1,1,0] neg_lo:[0,0,1] neg_hi:[0,0,1]
	v_pk_fma_f16 v31, v1, v31, v27 op_sel:[0,0,1] op_sel_hi:[1,0,0]
	ds_read2_b32 v[27:28], v28 offset0:16 offset1:232
	s_waitcnt vmcnt(3) lgkmcnt(1)
	v_pk_mul_f16 v1, v7, v34 op_sel:[0,1]
	v_pk_fma_f16 v37, v7, v34, v1 op_sel:[0,0,1] op_sel_hi:[1,1,0] neg_lo:[0,0,1] neg_hi:[0,0,1]
	v_pk_fma_f16 v7, v7, v34, v1 op_sel:[0,0,1] op_sel_hi:[1,0,0]
	s_waitcnt vmcnt(2)
	v_pk_mul_f16 v1, v11, v33 op_sel:[0,1]
	v_pk_fma_f16 v34, v11, v33, v1 op_sel:[0,0,1] op_sel_hi:[1,1,0] neg_lo:[0,0,1] neg_hi:[0,0,1]
	v_pk_fma_f16 v11, v11, v33, v1 op_sel:[0,0,1] op_sel_hi:[1,0,0]
	v_bfi_b32 v11, s6, v34, v11
	v_bfi_b32 v7, s6, v37, v7
	s_waitcnt vmcnt(0) lgkmcnt(0)
	v_pk_mul_f16 v1, v35, v27 op_sel:[0,1]
	v_pk_fma_f16 v33, v35, v27, v1 op_sel:[0,0,1] op_sel_hi:[1,1,0] neg_lo:[0,0,1] neg_hi:[0,0,1]
	v_pk_fma_f16 v27, v35, v27, v1 op_sel:[0,0,1] op_sel_hi:[1,0,0]
	v_pk_mul_f16 v1, v5, v28 op_sel:[0,1]
	v_pk_fma_f16 v35, v5, v28, v1 op_sel:[0,0,1] op_sel_hi:[1,1,0] neg_lo:[0,0,1] neg_hi:[0,0,1]
	v_pk_fma_f16 v28, v5, v28, v1 op_sel:[0,0,1] op_sel_hi:[1,0,0]
	v_lshl_add_u32 v5, v6, 2, 0
	v_lshl_add_u32 v1, v8, 2, 0
	v_bfi_b32 v6, s6, v33, v27
	v_bfi_b32 v8, s6, v35, v28
	ds_read_b32 v27, v22
	ds_read_b32 v28, v26
	;; [unrolled: 1-line block ×6, first 2 shown]
	s_waitcnt lgkmcnt(5)
	v_pk_add_f16 v6, v27, v6 neg_lo:[0,1] neg_hi:[0,1]
	v_pk_fma_f16 v27, v27, 2.0, v6 op_sel_hi:[1,0,1] neg_lo:[0,0,1] neg_hi:[0,0,1]
	s_waitcnt lgkmcnt(0)
	s_barrier
	ds_write_b32 v22, v27
	ds_write_b32 v22, v6 offset:5184
	v_pk_add_f16 v6, v35, v8 neg_lo:[0,1] neg_hi:[0,1]
	v_pk_add_f16 v11, v28, v11 neg_lo:[0,1] neg_hi:[0,1]
	v_pk_fma_f16 v8, v35, 2.0, v6 op_sel_hi:[1,0,1] neg_lo:[0,0,1] neg_hi:[0,0,1]
	v_pk_fma_f16 v27, v28, 2.0, v11 op_sel_hi:[1,0,1] neg_lo:[0,0,1] neg_hi:[0,0,1]
	v_pk_add_f16 v7, v39, v7 neg_lo:[0,1] neg_hi:[0,1]
	ds_write_b32 v30, v8
	ds_write_b32 v30, v6 offset:5184
	v_bfi_b32 v8, s6, v32, v31
	ds_write_b32 v26, v27
	ds_write_b32 v26, v11 offset:5184
	v_pk_fma_f16 v11, v39, 2.0, v7 op_sel_hi:[1,0,1] neg_lo:[0,0,1] neg_hi:[0,0,1]
	v_bfi_b32 v6, s6, v36, v29
	ds_write_b32 v5, v11
	ds_write_b32 v5, v7 offset:5184
	v_pk_add_f16 v7, v33, v8 neg_lo:[0,1] neg_hi:[0,1]
	v_pk_fma_f16 v8, v33, 2.0, v7 op_sel_hi:[1,0,1] neg_lo:[0,0,1] neg_hi:[0,0,1]
	v_pk_add_f16 v6, v38, v6 neg_lo:[0,1] neg_hi:[0,1]
	ds_write_b32 v25, v8
	ds_write_b32 v25, v7 offset:5184
	v_pk_fma_f16 v7, v38, 2.0, v6 op_sel_hi:[1,0,1] neg_lo:[0,0,1] neg_hi:[0,0,1]
	ds_write_b32 v1, v7
	ds_write_b32 v1, v6 offset:5184
	s_waitcnt lgkmcnt(0)
	s_barrier
	ds_read_b32 v27, v22
	v_sub_u32_e32 v6, 0, v24
                                        ; implicit-def: $vgpr11
                                        ; implicit-def: $vgpr7
                                        ; implicit-def: $vgpr8
	s_and_saveexec_b64 s[4:5], vcc
	s_xor_b64 s[4:5], exec, s[4:5]
	s_cbranch_execz .LBB0_15
; %bb.14:
	v_mov_b32_e32 v8, s8
	v_add_co_u32_e32 v7, vcc, s7, v20
	v_addc_co_u32_e32 v8, vcc, v8, v21, vcc
	global_load_dword v7, v[7:8], off
	ds_read_b32 v8, v6 offset:10368
	s_waitcnt lgkmcnt(0)
	v_pk_add_f16 v11, v27, v8 neg_lo:[0,1] neg_hi:[0,1]
	v_pk_add_f16 v8, v8, v27
	v_bfi_b32 v20, s6, v11, v8
	v_bfi_b32 v8, s6, v8, v11
	v_pk_mul_f16 v11, v20, 0.5 op_sel_hi:[1,0]
	v_pk_mul_f16 v20, v8, 0.5 op_sel_hi:[1,0]
                                        ; implicit-def: $vgpr27
	s_waitcnt vmcnt(0)
	v_pk_mul_f16 v21, v7, v11 op_sel:[1,0]
	v_pk_mul_f16 v24, v7, v11 op_sel_hi:[0,1]
	v_pk_fma_f16 v7, v8, 0.5, v21 op_sel_hi:[1,0,1]
	v_sub_f16_e32 v8, v20, v21
	v_sub_f16_sdwa v20, v21, v20 dst_sel:DWORD dst_unused:UNUSED_PAD src0_sel:WORD_1 src1_sel:WORD_1
	v_pk_add_f16 v11, v7, v24 op_sel:[0,1] op_sel_hi:[1,0]
	v_pk_add_f16 v21, v7, v24 op_sel:[0,1] op_sel_hi:[1,0] neg_lo:[0,1] neg_hi:[0,1]
	v_sub_f16_sdwa v7, v8, v24 dst_sel:DWORD dst_unused:UNUSED_PAD src0_sel:DWORD src1_sel:WORD_1
	v_bfi_b32 v11, s6, v11, v21
	v_sub_f16_e32 v8, v20, v24
.LBB0_15:
	s_or_saveexec_b64 s[4:5], s[4:5]
	v_mul_i32_i24_e32 v4, 0xffffffec, v4
	s_xor_b64 exec, exec, s[4:5]
	s_cbranch_execz .LBB0_17
; %bb.16:
	v_mov_b32_e32 v8, 0
	ds_read_u16 v11, v8 offset:5186
	s_waitcnt lgkmcnt(1)
	v_alignbit_b32 v20, s0, v27, 16
	v_pk_add_f16 v20, v20, v27
	v_sub_f16_sdwa v7, v27, v27 dst_sel:DWORD dst_unused:UNUSED_PAD src0_sel:DWORD src1_sel:WORD_1
	s_waitcnt lgkmcnt(0)
	v_xor_b32_e32 v11, 0x8000, v11
	ds_write_b16 v8, v11 offset:5186
	v_pack_b32_f16 v11, v20, 0
.LBB0_17:
	s_or_b64 exec, exec, s[4:5]
	v_mov_b32_e32 v20, s8
	v_add_co_u32_e32 v18, vcc, s7, v18
	v_addc_co_u32_e32 v19, vcc, v20, v19, vcc
	global_load_dword v18, v[18:19], off
	v_mov_b32_e32 v19, s8
	v_add_co_u32_e32 v9, vcc, s7, v9
	v_addc_co_u32_e32 v10, vcc, v19, v10, vcc
	global_load_dword v19, v[9:10], off
	;; [unrolled: 4-line block ×3, first 2 shown]
	ds_write_b16 v6, v8 offset:10370
	ds_write_b32 v22, v11
	ds_write_b16 v6, v7 offset:10368
	v_add_u32_e32 v4, v23, v4
	v_mov_b32_e32 v8, s8
	v_add_co_u32_e32 v7, vcc, s7, v12
	ds_read_b32 v11, v4
	ds_read_b32 v16, v6 offset:9504
	v_addc_co_u32_e32 v8, vcc, v8, v13, vcc
	global_load_dword v12, v[7:8], off
	s_mov_b32 s4, 0xffff
	s_waitcnt lgkmcnt(0)
	v_pk_add_f16 v7, v11, v16 neg_lo:[0,1] neg_hi:[0,1]
	v_pk_add_f16 v8, v11, v16
	v_bfi_b32 v11, s4, v7, v8
	v_bfi_b32 v7, s4, v8, v7
	v_pk_mul_f16 v8, v11, 0.5 op_sel_hi:[1,0]
	v_pk_mul_f16 v7, v7, 0.5 op_sel_hi:[1,0]
	v_mov_b32_e32 v10, s8
	s_waitcnt vmcnt(3)
	v_pk_fma_f16 v11, v18, v8, v7 op_sel:[1,0,0]
	v_pk_mul_f16 v13, v18, v8 op_sel_hi:[0,1]
	v_pk_fma_f16 v16, v18, v8, v7 op_sel:[1,0,0] neg_lo:[1,0,0] neg_hi:[1,0,0]
	v_pk_fma_f16 v7, v18, v8, v7 op_sel:[1,0,0] neg_lo:[0,0,1] neg_hi:[0,0,1]
	v_pk_add_f16 v8, v11, v13 op_sel:[0,1] op_sel_hi:[1,0]
	v_pk_add_f16 v11, v11, v13 op_sel:[0,1] op_sel_hi:[1,0] neg_lo:[0,1] neg_hi:[0,1]
	v_pk_add_f16 v16, v16, v13 op_sel:[0,1] op_sel_hi:[1,0] neg_lo:[0,1] neg_hi:[0,1]
	;; [unrolled: 1-line block ×3, first 2 shown]
	v_bfi_b32 v8, s4, v8, v11
	v_bfi_b32 v7, s4, v16, v7
	ds_write_b32 v4, v8
	ds_write_b32 v6, v7 offset:9504
	v_add_co_u32_e32 v7, vcc, s7, v14
	v_addc_co_u32_e32 v8, vcc, v10, v15, vcc
	ds_read_b32 v4, v26
	ds_read_b32 v11, v6 offset:8640
	global_load_dword v7, v[7:8], off
	s_waitcnt lgkmcnt(0)
	v_pk_add_f16 v8, v4, v11 neg_lo:[0,1] neg_hi:[0,1]
	v_pk_add_f16 v4, v4, v11
	v_bfi_b32 v10, s4, v8, v4
	v_bfi_b32 v4, s4, v4, v8
	v_pk_mul_f16 v8, v10, 0.5 op_sel_hi:[1,0]
	v_pk_mul_f16 v4, v4, 0.5 op_sel_hi:[1,0]
	s_waitcnt vmcnt(3)
	v_pk_fma_f16 v10, v19, v8, v4 op_sel:[1,0,0]
	v_pk_mul_f16 v11, v19, v8 op_sel_hi:[0,1]
	v_pk_fma_f16 v13, v19, v8, v4 op_sel:[1,0,0] neg_lo:[1,0,0] neg_hi:[1,0,0]
	v_pk_fma_f16 v4, v19, v8, v4 op_sel:[1,0,0] neg_lo:[0,0,1] neg_hi:[0,0,1]
	v_pk_add_f16 v8, v10, v11 op_sel:[0,1] op_sel_hi:[1,0]
	v_pk_add_f16 v10, v10, v11 op_sel:[0,1] op_sel_hi:[1,0] neg_lo:[0,1] neg_hi:[0,1]
	v_pk_add_f16 v13, v13, v11 op_sel:[0,1] op_sel_hi:[1,0] neg_lo:[0,1] neg_hi:[0,1]
	v_pk_add_f16 v4, v4, v11 op_sel:[0,1] op_sel_hi:[1,0] neg_lo:[0,1] neg_hi:[0,1]
	v_bfi_b32 v8, s4, v8, v10
	v_bfi_b32 v4, s4, v13, v4
	ds_write_b32 v26, v8
	ds_write_b32 v6, v4 offset:8640
	ds_read_b32 v4, v5
	ds_read_b32 v8, v6 offset:7776
	s_waitcnt lgkmcnt(0)
	v_pk_add_f16 v10, v4, v8 neg_lo:[0,1] neg_hi:[0,1]
	v_pk_add_f16 v4, v4, v8
	v_bfi_b32 v8, s4, v10, v4
	v_bfi_b32 v4, s4, v4, v10
	v_pk_mul_f16 v8, v8, 0.5 op_sel_hi:[1,0]
	v_pk_mul_f16 v4, v4, 0.5 op_sel_hi:[1,0]
	s_waitcnt vmcnt(2)
	v_pk_fma_f16 v10, v9, v8, v4 op_sel:[1,0,0]
	v_pk_mul_f16 v11, v9, v8 op_sel_hi:[0,1]
	v_pk_fma_f16 v13, v9, v8, v4 op_sel:[1,0,0] neg_lo:[1,0,0] neg_hi:[1,0,0]
	v_pk_fma_f16 v4, v9, v8, v4 op_sel:[1,0,0] neg_lo:[0,0,1] neg_hi:[0,0,1]
	v_pk_add_f16 v8, v10, v11 op_sel:[0,1] op_sel_hi:[1,0]
	v_pk_add_f16 v9, v10, v11 op_sel:[0,1] op_sel_hi:[1,0] neg_lo:[0,1] neg_hi:[0,1]
	v_pk_add_f16 v10, v13, v11 op_sel:[0,1] op_sel_hi:[1,0] neg_lo:[0,1] neg_hi:[0,1]
	v_pk_add_f16 v4, v4, v11 op_sel:[0,1] op_sel_hi:[1,0] neg_lo:[0,1] neg_hi:[0,1]
	v_bfi_b32 v8, s4, v8, v9
	v_bfi_b32 v4, s4, v10, v4
	ds_write_b32 v5, v8
	ds_write_b32 v6, v4 offset:7776
	ds_read_b32 v4, v25
	ds_read_b32 v5, v6 offset:6912
	;; [unrolled: 22-line block ×3, first 2 shown]
	s_waitcnt lgkmcnt(0)
	v_pk_add_f16 v8, v4, v5 neg_lo:[0,1] neg_hi:[0,1]
	v_pk_add_f16 v4, v4, v5
	v_bfi_b32 v5, s4, v8, v4
	v_bfi_b32 v4, s4, v4, v8
	v_pk_mul_f16 v5, v5, 0.5 op_sel_hi:[1,0]
	v_pk_mul_f16 v4, v4, 0.5 op_sel_hi:[1,0]
	s_waitcnt vmcnt(0)
	v_pk_fma_f16 v8, v7, v5, v4 op_sel:[1,0,0]
	v_pk_mul_f16 v9, v7, v5 op_sel_hi:[0,1]
	v_pk_fma_f16 v10, v7, v5, v4 op_sel:[1,0,0] neg_lo:[1,0,0] neg_hi:[1,0,0]
	v_pk_fma_f16 v4, v7, v5, v4 op_sel:[1,0,0] neg_lo:[0,0,1] neg_hi:[0,0,1]
	v_pk_add_f16 v5, v8, v9 op_sel:[0,1] op_sel_hi:[1,0]
	v_pk_add_f16 v7, v8, v9 op_sel:[0,1] op_sel_hi:[1,0] neg_lo:[0,1] neg_hi:[0,1]
	v_pk_add_f16 v8, v10, v9 op_sel:[0,1] op_sel_hi:[1,0] neg_lo:[0,1] neg_hi:[0,1]
	;; [unrolled: 1-line block ×3, first 2 shown]
	v_bfi_b32 v5, s4, v5, v7
	v_bfi_b32 v4, s4, v8, v4
	ds_write_b32 v1, v5
	ds_write_b32 v6, v4 offset:6048
	s_waitcnt lgkmcnt(0)
	s_barrier
	s_and_saveexec_b64 s[4:5], s[0:1]
	s_cbranch_execz .LBB0_20
; %bb.18:
	v_mov_b32_e32 v1, 0
	ds_read2_b32 v[5:6], v22 offset1:216
	v_mov_b32_e32 v7, s3
	v_add_co_u32_e32 v4, vcc, s2, v2
	v_addc_co_u32_e32 v2, vcc, v7, v3, vcc
	v_lshlrev_b64 v[7:8], 2, v[0:1]
	v_add_u32_e32 v3, 0x680, v22
	ds_read2_b32 v[9:10], v3 offset0:16 offset1:232
	v_add_co_u32_e32 v7, vcc, v4, v7
	v_add_u32_e32 v3, 0xd00, v22
	v_addc_co_u32_e32 v8, vcc, v2, v8, vcc
	ds_read2_b32 v[11:12], v3 offset0:32 offset1:248
	s_waitcnt lgkmcnt(2)
	global_store_dword v[7:8], v5, off
	global_store_dword v[7:8], v6, off offset:864
	s_waitcnt lgkmcnt(1)
	global_store_dword v[7:8], v9, off offset:1728
	global_store_dword v[7:8], v10, off offset:2592
	s_waitcnt lgkmcnt(0)
	global_store_dword v[7:8], v11, off offset:3456
	v_add_u32_e32 v3, 0x1400, v22
	ds_read2_b32 v[5:6], v3 offset0:16 offset1:232
	s_movk_i32 s0, 0x1000
	v_add_u32_e32 v3, 0x1b00, v22
	ds_read2_b32 v[9:10], v3 offset1:216
	v_add_co_u32_e32 v13, vcc, s0, v7
	v_addc_co_u32_e32 v14, vcc, 0, v8, vcc
	global_store_dword v[13:14], v12, off offset:224
	s_waitcnt lgkmcnt(1)
	global_store_dword v[13:14], v5, off offset:1088
	global_store_dword v[13:14], v6, off offset:1952
	s_waitcnt lgkmcnt(0)
	global_store_dword v[13:14], v9, off offset:2816
	global_store_dword v[13:14], v10, off offset:3680
	v_add_u32_e32 v3, 0x2180, v22
	ds_read2_b32 v[5:6], v3 offset0:16 offset1:232
	v_add_co_u32_e32 v7, vcc, 0x2000, v7
	v_addc_co_u32_e32 v8, vcc, 0, v8, vcc
	s_movk_i32 s0, 0xd7
	v_cmp_eq_u32_e32 vcc, s0, v0
	s_waitcnt lgkmcnt(0)
	global_store_dword v[7:8], v5, off offset:448
	global_store_dword v[7:8], v6, off offset:1312
	s_and_b64 exec, exec, vcc
	s_cbranch_execz .LBB0_20
; %bb.19:
	ds_read_b32 v3, v1 offset:10368
	v_add_co_u32_e32 v0, vcc, 0x2000, v4
	v_addc_co_u32_e32 v1, vcc, 0, v2, vcc
	s_waitcnt lgkmcnt(0)
	global_store_dword v[0:1], v3, off offset:2176
.LBB0_20:
	s_endpgm
	.section	.rodata,"a",@progbits
	.p2align	6, 0x0
	.amdhsa_kernel fft_rtc_fwd_len2592_factors_6_6_6_6_2_wgs_216_tpt_216_halfLds_half_ip_CI_unitstride_sbrr_R2C_dirReg
		.amdhsa_group_segment_fixed_size 0
		.amdhsa_private_segment_fixed_size 0
		.amdhsa_kernarg_size 88
		.amdhsa_user_sgpr_count 6
		.amdhsa_user_sgpr_private_segment_buffer 1
		.amdhsa_user_sgpr_dispatch_ptr 0
		.amdhsa_user_sgpr_queue_ptr 0
		.amdhsa_user_sgpr_kernarg_segment_ptr 1
		.amdhsa_user_sgpr_dispatch_id 0
		.amdhsa_user_sgpr_flat_scratch_init 0
		.amdhsa_user_sgpr_private_segment_size 0
		.amdhsa_uses_dynamic_stack 0
		.amdhsa_system_sgpr_private_segment_wavefront_offset 0
		.amdhsa_system_sgpr_workgroup_id_x 1
		.amdhsa_system_sgpr_workgroup_id_y 0
		.amdhsa_system_sgpr_workgroup_id_z 0
		.amdhsa_system_sgpr_workgroup_info 0
		.amdhsa_system_vgpr_workitem_id 0
		.amdhsa_next_free_vgpr 63
		.amdhsa_next_free_sgpr 22
		.amdhsa_reserve_vcc 1
		.amdhsa_reserve_flat_scratch 0
		.amdhsa_float_round_mode_32 0
		.amdhsa_float_round_mode_16_64 0
		.amdhsa_float_denorm_mode_32 3
		.amdhsa_float_denorm_mode_16_64 3
		.amdhsa_dx10_clamp 1
		.amdhsa_ieee_mode 1
		.amdhsa_fp16_overflow 0
		.amdhsa_exception_fp_ieee_invalid_op 0
		.amdhsa_exception_fp_denorm_src 0
		.amdhsa_exception_fp_ieee_div_zero 0
		.amdhsa_exception_fp_ieee_overflow 0
		.amdhsa_exception_fp_ieee_underflow 0
		.amdhsa_exception_fp_ieee_inexact 0
		.amdhsa_exception_int_div_zero 0
	.end_amdhsa_kernel
	.text
.Lfunc_end0:
	.size	fft_rtc_fwd_len2592_factors_6_6_6_6_2_wgs_216_tpt_216_halfLds_half_ip_CI_unitstride_sbrr_R2C_dirReg, .Lfunc_end0-fft_rtc_fwd_len2592_factors_6_6_6_6_2_wgs_216_tpt_216_halfLds_half_ip_CI_unitstride_sbrr_R2C_dirReg
                                        ; -- End function
	.section	.AMDGPU.csdata,"",@progbits
; Kernel info:
; codeLenInByte = 8484
; NumSgprs: 26
; NumVgprs: 63
; ScratchSize: 0
; MemoryBound: 0
; FloatMode: 240
; IeeeMode: 1
; LDSByteSize: 0 bytes/workgroup (compile time only)
; SGPRBlocks: 3
; VGPRBlocks: 15
; NumSGPRsForWavesPerEU: 26
; NumVGPRsForWavesPerEU: 63
; Occupancy: 4
; WaveLimiterHint : 1
; COMPUTE_PGM_RSRC2:SCRATCH_EN: 0
; COMPUTE_PGM_RSRC2:USER_SGPR: 6
; COMPUTE_PGM_RSRC2:TRAP_HANDLER: 0
; COMPUTE_PGM_RSRC2:TGID_X_EN: 1
; COMPUTE_PGM_RSRC2:TGID_Y_EN: 0
; COMPUTE_PGM_RSRC2:TGID_Z_EN: 0
; COMPUTE_PGM_RSRC2:TIDIG_COMP_CNT: 0
	.type	__hip_cuid_86db4fc19beabb74,@object ; @__hip_cuid_86db4fc19beabb74
	.section	.bss,"aw",@nobits
	.globl	__hip_cuid_86db4fc19beabb74
__hip_cuid_86db4fc19beabb74:
	.byte	0                               ; 0x0
	.size	__hip_cuid_86db4fc19beabb74, 1

	.ident	"AMD clang version 19.0.0git (https://github.com/RadeonOpenCompute/llvm-project roc-6.4.0 25133 c7fe45cf4b819c5991fe208aaa96edf142730f1d)"
	.section	".note.GNU-stack","",@progbits
	.addrsig
	.addrsig_sym __hip_cuid_86db4fc19beabb74
	.amdgpu_metadata
---
amdhsa.kernels:
  - .args:
      - .actual_access:  read_only
        .address_space:  global
        .offset:         0
        .size:           8
        .value_kind:     global_buffer
      - .offset:         8
        .size:           8
        .value_kind:     by_value
      - .actual_access:  read_only
        .address_space:  global
        .offset:         16
        .size:           8
        .value_kind:     global_buffer
      - .actual_access:  read_only
        .address_space:  global
        .offset:         24
        .size:           8
        .value_kind:     global_buffer
      - .offset:         32
        .size:           8
        .value_kind:     by_value
      - .actual_access:  read_only
        .address_space:  global
        .offset:         40
        .size:           8
        .value_kind:     global_buffer
      - .actual_access:  read_only
        .address_space:  global
        .offset:         48
        .size:           8
        .value_kind:     global_buffer
      - .offset:         56
        .size:           4
        .value_kind:     by_value
      - .actual_access:  read_only
        .address_space:  global
        .offset:         64
        .size:           8
        .value_kind:     global_buffer
      - .actual_access:  read_only
        .address_space:  global
        .offset:         72
        .size:           8
        .value_kind:     global_buffer
      - .address_space:  global
        .offset:         80
        .size:           8
        .value_kind:     global_buffer
    .group_segment_fixed_size: 0
    .kernarg_segment_align: 8
    .kernarg_segment_size: 88
    .language:       OpenCL C
    .language_version:
      - 2
      - 0
    .max_flat_workgroup_size: 216
    .name:           fft_rtc_fwd_len2592_factors_6_6_6_6_2_wgs_216_tpt_216_halfLds_half_ip_CI_unitstride_sbrr_R2C_dirReg
    .private_segment_fixed_size: 0
    .sgpr_count:     26
    .sgpr_spill_count: 0
    .symbol:         fft_rtc_fwd_len2592_factors_6_6_6_6_2_wgs_216_tpt_216_halfLds_half_ip_CI_unitstride_sbrr_R2C_dirReg.kd
    .uniform_work_group_size: 1
    .uses_dynamic_stack: false
    .vgpr_count:     63
    .vgpr_spill_count: 0
    .wavefront_size: 64
amdhsa.target:   amdgcn-amd-amdhsa--gfx906
amdhsa.version:
  - 1
  - 2
...

	.end_amdgpu_metadata
